;; amdgpu-corpus repo=ROCm/rocFFT kind=compiled arch=gfx1030 opt=O3
	.text
	.amdgcn_target "amdgcn-amd-amdhsa--gfx1030"
	.amdhsa_code_object_version 6
	.protected	fft_rtc_back_len1500_factors_5_10_10_3_wgs_150_tpt_150_halfLds_dp_op_CI_CI_unitstride_sbrr_R2C_dirReg ; -- Begin function fft_rtc_back_len1500_factors_5_10_10_3_wgs_150_tpt_150_halfLds_dp_op_CI_CI_unitstride_sbrr_R2C_dirReg
	.globl	fft_rtc_back_len1500_factors_5_10_10_3_wgs_150_tpt_150_halfLds_dp_op_CI_CI_unitstride_sbrr_R2C_dirReg
	.p2align	8
	.type	fft_rtc_back_len1500_factors_5_10_10_3_wgs_150_tpt_150_halfLds_dp_op_CI_CI_unitstride_sbrr_R2C_dirReg,@function
fft_rtc_back_len1500_factors_5_10_10_3_wgs_150_tpt_150_halfLds_dp_op_CI_CI_unitstride_sbrr_R2C_dirReg: ; @fft_rtc_back_len1500_factors_5_10_10_3_wgs_150_tpt_150_halfLds_dp_op_CI_CI_unitstride_sbrr_R2C_dirReg
; %bb.0:
	s_clause 0x2
	s_load_dwordx4 s[12:15], s[4:5], 0x0
	s_load_dwordx4 s[8:11], s[4:5], 0x58
	;; [unrolled: 1-line block ×3, first 2 shown]
	v_mul_u32_u24_e32 v1, 0x1b5, v0
	v_mov_b32_e32 v3, 0
	v_add_nc_u32_sdwa v5, s6, v1 dst_sel:DWORD dst_unused:UNUSED_PAD src0_sel:DWORD src1_sel:WORD_1
	v_mov_b32_e32 v1, 0
	v_mov_b32_e32 v6, v3
	v_mov_b32_e32 v2, 0
	s_waitcnt lgkmcnt(0)
	v_cmp_lt_u64_e64 s0, s[14:15], 2
	s_and_b32 vcc_lo, exec_lo, s0
	s_cbranch_vccnz .LBB0_8
; %bb.1:
	s_load_dwordx2 s[0:1], s[4:5], 0x10
	v_mov_b32_e32 v1, 0
	v_mov_b32_e32 v2, 0
	s_add_u32 s2, s18, 8
	s_addc_u32 s3, s19, 0
	s_add_u32 s6, s16, 8
	s_addc_u32 s7, s17, 0
	v_mov_b32_e32 v49, v2
	v_mov_b32_e32 v48, v1
	s_mov_b64 s[22:23], 1
	s_waitcnt lgkmcnt(0)
	s_add_u32 s20, s0, 8
	s_addc_u32 s21, s1, 0
.LBB0_2:                                ; =>This Inner Loop Header: Depth=1
	s_load_dwordx2 s[24:25], s[20:21], 0x0
                                        ; implicit-def: $vgpr52_vgpr53
	s_mov_b32 s0, exec_lo
	s_waitcnt lgkmcnt(0)
	v_or_b32_e32 v4, s25, v6
	v_cmpx_ne_u64_e32 0, v[3:4]
	s_xor_b32 s1, exec_lo, s0
	s_cbranch_execz .LBB0_4
; %bb.3:                                ;   in Loop: Header=BB0_2 Depth=1
	v_cvt_f32_u32_e32 v4, s24
	v_cvt_f32_u32_e32 v7, s25
	s_sub_u32 s0, 0, s24
	s_subb_u32 s26, 0, s25
	v_fmac_f32_e32 v4, 0x4f800000, v7
	v_rcp_f32_e32 v4, v4
	v_mul_f32_e32 v4, 0x5f7ffffc, v4
	v_mul_f32_e32 v7, 0x2f800000, v4
	v_trunc_f32_e32 v7, v7
	v_fmac_f32_e32 v4, 0xcf800000, v7
	v_cvt_u32_f32_e32 v7, v7
	v_cvt_u32_f32_e32 v4, v4
	v_mul_lo_u32 v8, s0, v7
	v_mul_hi_u32 v9, s0, v4
	v_mul_lo_u32 v10, s26, v4
	v_add_nc_u32_e32 v8, v9, v8
	v_mul_lo_u32 v9, s0, v4
	v_add_nc_u32_e32 v8, v8, v10
	v_mul_hi_u32 v10, v4, v9
	v_mul_lo_u32 v11, v4, v8
	v_mul_hi_u32 v12, v4, v8
	v_mul_hi_u32 v13, v7, v9
	v_mul_lo_u32 v9, v7, v9
	v_mul_hi_u32 v14, v7, v8
	v_mul_lo_u32 v8, v7, v8
	v_add_co_u32 v10, vcc_lo, v10, v11
	v_add_co_ci_u32_e32 v11, vcc_lo, 0, v12, vcc_lo
	v_add_co_u32 v9, vcc_lo, v10, v9
	v_add_co_ci_u32_e32 v9, vcc_lo, v11, v13, vcc_lo
	v_add_co_ci_u32_e32 v10, vcc_lo, 0, v14, vcc_lo
	v_add_co_u32 v8, vcc_lo, v9, v8
	v_add_co_ci_u32_e32 v9, vcc_lo, 0, v10, vcc_lo
	v_add_co_u32 v4, vcc_lo, v4, v8
	v_add_co_ci_u32_e32 v7, vcc_lo, v7, v9, vcc_lo
	v_mul_hi_u32 v8, s0, v4
	v_mul_lo_u32 v10, s26, v4
	v_mul_lo_u32 v9, s0, v7
	v_add_nc_u32_e32 v8, v8, v9
	v_mul_lo_u32 v9, s0, v4
	v_add_nc_u32_e32 v8, v8, v10
	v_mul_hi_u32 v10, v4, v9
	v_mul_lo_u32 v11, v4, v8
	v_mul_hi_u32 v12, v4, v8
	v_mul_hi_u32 v13, v7, v9
	v_mul_lo_u32 v9, v7, v9
	v_mul_hi_u32 v14, v7, v8
	v_mul_lo_u32 v8, v7, v8
	v_add_co_u32 v10, vcc_lo, v10, v11
	v_add_co_ci_u32_e32 v11, vcc_lo, 0, v12, vcc_lo
	v_add_co_u32 v9, vcc_lo, v10, v9
	v_add_co_ci_u32_e32 v9, vcc_lo, v11, v13, vcc_lo
	v_add_co_ci_u32_e32 v10, vcc_lo, 0, v14, vcc_lo
	v_add_co_u32 v8, vcc_lo, v9, v8
	v_add_co_ci_u32_e32 v9, vcc_lo, 0, v10, vcc_lo
	v_add_co_u32 v4, vcc_lo, v4, v8
	v_add_co_ci_u32_e32 v11, vcc_lo, v7, v9, vcc_lo
	v_mul_hi_u32 v13, v5, v4
	v_mad_u64_u32 v[9:10], null, v6, v4, 0
	v_mad_u64_u32 v[7:8], null, v5, v11, 0
	;; [unrolled: 1-line block ×3, first 2 shown]
	v_add_co_u32 v4, vcc_lo, v13, v7
	v_add_co_ci_u32_e32 v7, vcc_lo, 0, v8, vcc_lo
	v_add_co_u32 v4, vcc_lo, v4, v9
	v_add_co_ci_u32_e32 v4, vcc_lo, v7, v10, vcc_lo
	v_add_co_ci_u32_e32 v7, vcc_lo, 0, v12, vcc_lo
	v_add_co_u32 v4, vcc_lo, v4, v11
	v_add_co_ci_u32_e32 v9, vcc_lo, 0, v7, vcc_lo
	v_mul_lo_u32 v10, s25, v4
	v_mad_u64_u32 v[7:8], null, s24, v4, 0
	v_mul_lo_u32 v11, s24, v9
	v_sub_co_u32 v7, vcc_lo, v5, v7
	v_add3_u32 v8, v8, v11, v10
	v_sub_nc_u32_e32 v10, v6, v8
	v_subrev_co_ci_u32_e64 v10, s0, s25, v10, vcc_lo
	v_add_co_u32 v11, s0, v4, 2
	v_add_co_ci_u32_e64 v12, s0, 0, v9, s0
	v_sub_co_u32 v13, s0, v7, s24
	v_sub_co_ci_u32_e32 v8, vcc_lo, v6, v8, vcc_lo
	v_subrev_co_ci_u32_e64 v10, s0, 0, v10, s0
	v_cmp_le_u32_e32 vcc_lo, s24, v13
	v_cmp_eq_u32_e64 s0, s25, v8
	v_cndmask_b32_e64 v13, 0, -1, vcc_lo
	v_cmp_le_u32_e32 vcc_lo, s25, v10
	v_cndmask_b32_e64 v14, 0, -1, vcc_lo
	v_cmp_le_u32_e32 vcc_lo, s24, v7
	;; [unrolled: 2-line block ×3, first 2 shown]
	v_cndmask_b32_e64 v15, 0, -1, vcc_lo
	v_cmp_eq_u32_e32 vcc_lo, s25, v10
	v_cndmask_b32_e64 v7, v15, v7, s0
	v_cndmask_b32_e32 v10, v14, v13, vcc_lo
	v_add_co_u32 v13, vcc_lo, v4, 1
	v_add_co_ci_u32_e32 v14, vcc_lo, 0, v9, vcc_lo
	v_cmp_ne_u32_e32 vcc_lo, 0, v10
	v_cndmask_b32_e32 v8, v14, v12, vcc_lo
	v_cndmask_b32_e32 v10, v13, v11, vcc_lo
	v_cmp_ne_u32_e32 vcc_lo, 0, v7
	v_cndmask_b32_e32 v53, v9, v8, vcc_lo
	v_cndmask_b32_e32 v52, v4, v10, vcc_lo
.LBB0_4:                                ;   in Loop: Header=BB0_2 Depth=1
	s_andn2_saveexec_b32 s0, s1
	s_cbranch_execz .LBB0_6
; %bb.5:                                ;   in Loop: Header=BB0_2 Depth=1
	v_cvt_f32_u32_e32 v4, s24
	s_sub_i32 s1, 0, s24
	v_mov_b32_e32 v53, v3
	v_rcp_iflag_f32_e32 v4, v4
	v_mul_f32_e32 v4, 0x4f7ffffe, v4
	v_cvt_u32_f32_e32 v4, v4
	v_mul_lo_u32 v7, s1, v4
	v_mul_hi_u32 v7, v4, v7
	v_add_nc_u32_e32 v4, v4, v7
	v_mul_hi_u32 v4, v5, v4
	v_mul_lo_u32 v7, v4, s24
	v_add_nc_u32_e32 v8, 1, v4
	v_sub_nc_u32_e32 v7, v5, v7
	v_subrev_nc_u32_e32 v9, s24, v7
	v_cmp_le_u32_e32 vcc_lo, s24, v7
	v_cndmask_b32_e32 v7, v7, v9, vcc_lo
	v_cndmask_b32_e32 v4, v4, v8, vcc_lo
	v_cmp_le_u32_e32 vcc_lo, s24, v7
	v_add_nc_u32_e32 v8, 1, v4
	v_cndmask_b32_e32 v52, v4, v8, vcc_lo
.LBB0_6:                                ;   in Loop: Header=BB0_2 Depth=1
	s_or_b32 exec_lo, exec_lo, s0
	v_mul_lo_u32 v4, v53, s24
	v_mul_lo_u32 v9, v52, s25
	s_load_dwordx2 s[0:1], s[6:7], 0x0
	v_mad_u64_u32 v[7:8], null, v52, s24, 0
	s_load_dwordx2 s[24:25], s[2:3], 0x0
	s_add_u32 s22, s22, 1
	s_addc_u32 s23, s23, 0
	s_add_u32 s2, s2, 8
	s_addc_u32 s3, s3, 0
	s_add_u32 s6, s6, 8
	v_add3_u32 v4, v8, v9, v4
	v_sub_co_u32 v5, vcc_lo, v5, v7
	s_addc_u32 s7, s7, 0
	s_add_u32 s20, s20, 8
	v_sub_co_ci_u32_e32 v4, vcc_lo, v6, v4, vcc_lo
	s_addc_u32 s21, s21, 0
	s_waitcnt lgkmcnt(0)
	v_mul_lo_u32 v6, s0, v4
	v_mul_lo_u32 v7, s1, v5
	v_mad_u64_u32 v[1:2], null, s0, v5, v[1:2]
	v_mul_lo_u32 v4, s24, v4
	v_mul_lo_u32 v8, s25, v5
	v_mad_u64_u32 v[48:49], null, s24, v5, v[48:49]
	v_cmp_ge_u64_e64 s0, s[22:23], s[14:15]
	v_add3_u32 v2, v7, v2, v6
	v_add3_u32 v49, v8, v49, v4
	s_and_b32 vcc_lo, exec_lo, s0
	s_cbranch_vccnz .LBB0_9
; %bb.7:                                ;   in Loop: Header=BB0_2 Depth=1
	v_mov_b32_e32 v5, v52
	v_mov_b32_e32 v6, v53
	s_branch .LBB0_2
.LBB0_8:
	v_mov_b32_e32 v49, v2
	v_mov_b32_e32 v53, v6
	;; [unrolled: 1-line block ×4, first 2 shown]
.LBB0_9:
	s_load_dwordx2 s[0:1], s[4:5], 0x28
	v_mul_hi_u32 v3, 0x1b4e81c, v0
	s_lshl_b64 s[4:5], s[14:15], 3
                                        ; implicit-def: $vgpr50
                                        ; implicit-def: $vgpr54
                                        ; implicit-def: $vgpr57
                                        ; implicit-def: $vgpr56
	s_add_u32 s2, s18, s4
	s_addc_u32 s3, s19, s5
	s_waitcnt lgkmcnt(0)
	v_cmp_gt_u64_e32 vcc_lo, s[0:1], v[52:53]
	v_cmp_le_u64_e64 s0, s[0:1], v[52:53]
	s_and_saveexec_b32 s1, s0
	s_xor_b32 s0, exec_lo, s1
; %bb.10:
	v_mul_u32_u24_e32 v1, 0x96, v3
                                        ; implicit-def: $vgpr3
	v_sub_nc_u32_e32 v50, v0, v1
                                        ; implicit-def: $vgpr0
                                        ; implicit-def: $vgpr1_vgpr2
	v_add_nc_u32_e32 v54, 0x96, v50
	v_add_nc_u32_e32 v57, 0x12c, v50
	;; [unrolled: 1-line block ×3, first 2 shown]
; %bb.11:
	s_andn2_saveexec_b32 s1, s0
	s_cbranch_execz .LBB0_13
; %bb.12:
	s_add_u32 s4, s16, s4
	s_addc_u32 s5, s17, s5
	v_lshlrev_b64 v[1:2], 4, v[1:2]
	s_load_dwordx2 s[4:5], s[4:5], 0x0
	s_waitcnt lgkmcnt(0)
	v_mul_lo_u32 v6, s5, v52
	v_mul_lo_u32 v7, s4, v53
	v_mad_u64_u32 v[4:5], null, s4, v52, 0
	v_add3_u32 v5, v5, v7, v6
	v_mul_u32_u24_e32 v6, 0x96, v3
	v_lshlrev_b64 v[3:4], 4, v[4:5]
	v_sub_nc_u32_e32 v50, v0, v6
	v_lshlrev_b32_e32 v40, 4, v50
	v_add_co_u32 v0, s0, s8, v3
	v_add_co_ci_u32_e64 v3, s0, s9, v4, s0
	v_add_nc_u32_e32 v54, 0x96, v50
	v_add_co_u32 v0, s0, v0, v1
	v_add_co_ci_u32_e64 v1, s0, v3, v2, s0
	v_add_nc_u32_e32 v57, 0x12c, v50
	;; [unrolled: 3-line block ×3, first 2 shown]
	v_add_co_u32 v4, s0, 0x800, v0
	v_add_co_ci_u32_e64 v5, s0, 0, v1, s0
	v_add_co_u32 v8, s0, 0x1000, v0
	v_add_co_ci_u32_e64 v9, s0, 0, v1, s0
	;; [unrolled: 2-line block ×9, first 2 shown]
	s_clause 0x9
	global_load_dwordx4 v[0:3], v[0:1], off
	global_load_dwordx4 v[4:7], v[4:5], off offset:352
	global_load_dwordx4 v[8:11], v[8:9], off offset:704
	;; [unrolled: 1-line block ×9, first 2 shown]
	v_add_nc_u32_e32 v56, 0x1c2, v50
	s_waitcnt vmcnt(9)
	ds_write_b128 v40, v[0:3]
	s_waitcnt vmcnt(8)
	ds_write_b128 v40, v[4:7] offset:2400
	s_waitcnt vmcnt(7)
	ds_write_b128 v40, v[8:11] offset:4800
	;; [unrolled: 2-line block ×9, first 2 shown]
.LBB0_13:
	s_or_b32 exec_lo, exec_lo, s1
	v_lshl_add_u32 v60, v50, 4, 0
	s_load_dwordx2 s[2:3], s[2:3], 0x0
	s_waitcnt lgkmcnt(0)
	s_barrier
	buffer_gl0_inv
	ds_read_b128 v[0:3], v60
	ds_read_b128 v[4:7], v60 offset:2400
	ds_read_b128 v[8:11], v60 offset:4800
	;; [unrolled: 1-line block ×9, first 2 shown]
	s_mov_b32 s4, 0x134454ff
	s_mov_b32 s5, 0xbfee6f0e
	;; [unrolled: 1-line block ×10, first 2 shown]
	s_waitcnt lgkmcnt(0)
	s_barrier
	v_add_f64 v[40:41], v[0:1], v[8:9]
	v_add_f64 v[42:43], v[2:3], v[10:11]
	v_add_f64 v[44:45], v[12:13], v[16:17]
	v_add_f64 v[58:59], v[14:15], v[18:19]
	v_add_f64 v[63:64], v[8:9], v[24:25]
	v_add_f64 v[46:47], v[4:5], v[20:21]
	v_add_f64 v[61:62], v[6:7], v[22:23]
	v_add_f64 v[65:66], v[10:11], v[26:27]
	v_add_f64 v[67:68], v[14:15], -v[18:19]
	v_add_f64 v[69:70], v[8:9], -v[12:13]
	v_add_f64 v[71:72], v[28:29], v[32:33]
	v_add_f64 v[73:74], v[20:21], v[36:37]
	;; [unrolled: 1-line block ×4, first 2 shown]
	v_add_f64 v[79:80], v[12:13], -v[8:9]
	v_add_f64 v[81:82], v[12:13], -v[16:17]
	;; [unrolled: 1-line block ×8, first 2 shown]
	v_add_f64 v[12:13], v[40:41], v[12:13]
	v_add_f64 v[14:15], v[42:43], v[14:15]
	v_fma_f64 v[40:41], v[44:45], -0.5, v[0:1]
	v_fma_f64 v[44:45], v[58:59], -0.5, v[2:3]
	;; [unrolled: 1-line block ×3, first 2 shown]
	v_add_f64 v[42:43], v[26:27], -v[18:19]
	v_add_f64 v[63:64], v[30:31], -v[34:35]
	v_fma_f64 v[2:3], v[65:66], -0.5, v[2:3]
	v_add_f64 v[65:66], v[20:21], -v[28:29]
	v_add_f64 v[89:90], v[16:17], -v[24:25]
	v_fma_f64 v[71:72], v[71:72], -0.5, v[4:5]
	v_fma_f64 v[4:5], v[73:74], -0.5, v[4:5]
	;; [unrolled: 1-line block ×4, first 2 shown]
	v_add_f64 v[75:76], v[28:29], -v[32:33]
	v_add_f64 v[77:78], v[22:23], -v[30:31]
	v_add_f64 v[28:29], v[46:47], v[28:29]
	v_add_f64 v[46:47], v[61:62], v[30:31]
	v_add_f64 v[30:31], v[30:31], -v[22:23]
	v_add_f64 v[22:23], v[22:23], -v[38:39]
	;; [unrolled: 1-line block ×4, first 2 shown]
	v_add_f64 v[12:13], v[12:13], v[16:17]
	v_add_f64 v[14:15], v[14:15], v[18:19]
	v_fma_f64 v[16:17], v[10:11], s[4:5], v[40:41]
	v_fma_f64 v[18:19], v[10:11], s[0:1], v[40:41]
	;; [unrolled: 1-line block ×6, first 2 shown]
	v_add_f64 v[69:70], v[69:70], v[87:88]
	v_add_f64 v[87:88], v[36:37], -v[32:33]
	v_add_f64 v[42:43], v[83:84], v[42:43]
	v_add_f64 v[83:84], v[32:33], -v[36:37]
	v_add_f64 v[79:80], v[79:80], v[89:90]
	v_add_f64 v[89:90], v[38:39], -v[34:35]
	buffer_gl0_inv
	v_mad_i32_i24 v51, 0x50, v54, 0
	v_add_f64 v[28:29], v[28:29], v[32:33]
	v_add_f64 v[32:33], v[46:47], v[34:35]
	v_lshlrev_b32_e32 v55, 6, v54
	s_mov_b32 s20, 0x9b97f4a8
	v_add_f64 v[58:59], v[85:86], v[58:59]
	v_add_f64 v[85:86], v[34:35], -v[38:39]
	v_fma_f64 v[34:35], v[81:82], s[4:5], v[2:3]
	v_fma_f64 v[2:3], v[81:82], s[0:1], v[2:3]
	;; [unrolled: 1-line block ×16, first 2 shown]
	v_add_f64 v[65:66], v[65:66], v[87:88]
	v_add_f64 v[0:1], v[12:13], v[24:25]
	v_add_f64 v[77:78], v[77:78], v[89:90]
	v_add_f64 v[83:84], v[91:92], v[83:84]
	s_mov_b32 s21, 0x3fe9e377
	s_mov_b32 s17, 0xbfd3c6ef
	v_fma_f64 v[34:35], v[8:9], s[6:7], v[34:35]
	v_fma_f64 v[95:96], v[8:9], s[8:9], v[2:3]
	v_add_f64 v[2:3], v[14:15], v[26:27]
	v_fma_f64 v[8:9], v[69:70], s[14:15], v[16:17]
	v_mov_b32_e32 v17, 9
	v_fma_f64 v[12:13], v[63:64], s[8:9], v[61:62]
	v_fma_f64 v[14:15], v[63:64], s[6:7], v[71:72]
	s_mov_b32 s16, s14
	s_mov_b32 s19, 0xbfe9e377
	;; [unrolled: 1-line block ×3, first 2 shown]
	v_fma_f64 v[73:74], v[75:76], s[8:9], v[73:74]
	v_fma_f64 v[61:62], v[22:23], s[8:9], v[67:68]
	;; [unrolled: 1-line block ×3, first 2 shown]
	v_add_f64 v[81:82], v[30:31], v[85:86]
	v_fma_f64 v[85:86], v[20:21], s[6:7], v[10:11]
	v_fma_f64 v[63:64], v[22:23], s[6:7], v[4:5]
	;; [unrolled: 1-line block ×4, first 2 shown]
	v_and_b32_e32 v18, 0xff, v50
	v_fma_f64 v[10:11], v[42:43], s[14:15], v[40:41]
	v_add_f64 v[6:7], v[32:33], v[38:39]
	v_fma_f64 v[23:24], v[79:80], s[14:15], v[46:47]
	v_fma_f64 v[25:26], v[58:59], s[14:15], v[34:35]
	v_add_f64 v[4:5], v[28:29], v[36:37]
	v_fma_f64 v[27:28], v[79:80], s[14:15], v[93:94]
	v_fma_f64 v[29:30], v[58:59], s[14:15], v[95:96]
	;; [unrolled: 1-line block ×4, first 2 shown]
	v_mul_lo_u16 v12, 0xcd, v18
	v_fma_f64 v[39:40], v[65:66], s[14:15], v[14:15]
	v_sub_nc_u32_e32 v14, v51, v55
	v_mul_lo_u16 v47, v18, 41
	v_fma_f64 v[41:42], v[77:78], s[14:15], v[73:74]
	v_lshrrev_b16 v15, 10, v12
	v_fma_f64 v[33:34], v[77:78], s[14:15], v[67:68]
	v_fma_f64 v[35:36], v[83:84], s[14:15], v[61:62]
	;; [unrolled: 1-line block ×4, first 2 shown]
	v_mul_lo_u16 v13, v15, 5
	v_fma_f64 v[45:46], v[81:82], s[14:15], v[71:72]
	v_lshl_add_u32 v12, v50, 6, v60
	ds_write_b128 v12, v[0:3]
	ds_write_b128 v12, v[8:11] offset:16
	v_sub_nc_u16 v16, v50, v13
	ds_write_b128 v12, v[23:26] offset:32
	ds_write_b128 v12, v[27:30] offset:48
	;; [unrolled: 1-line block ×3, first 2 shown]
	ds_write_b128 v51, v[4:7]
	ds_write_b128 v51, v[31:34] offset:16
	ds_write_b128 v51, v[35:38] offset:32
	;; [unrolled: 1-line block ×3, first 2 shown]
	v_mul_u32_u24_sdwa v0, v16, v17 dst_sel:DWORD dst_unused:UNUSED_PAD src0_sel:BYTE_0 src1_sel:DWORD
	ds_write_b128 v51, v[39:42] offset:64
	s_waitcnt lgkmcnt(0)
	s_barrier
	buffer_gl0_inv
	v_lshlrev_b32_e32 v12, 4, v0
	s_clause 0x8
	global_load_dwordx4 v[0:3], v12, s[12:13] offset:16
	global_load_dwordx4 v[4:7], v12, s[12:13] offset:32
	;; [unrolled: 1-line block ×8, first 2 shown]
	global_load_dwordx4 v[39:42], v12, s[12:13]
	v_lshl_add_u32 v62, v57, 4, 0
	v_lshl_add_u32 v61, v56, 4, 0
	v_sub_nc_u32_e32 v55, 0, v55
	ds_read_b128 v[43:46], v62
	ds_read_b128 v[63:66], v61
	ds_read_b128 v[67:70], v60 offset:21600
	ds_read_b128 v[71:74], v60 offset:9600
	;; [unrolled: 1-line block ×3, first 2 shown]
	ds_read_b128 v[75:78], v14
	ds_read_b128 v[79:82], v60
	s_waitcnt vmcnt(8) lgkmcnt(6)
	v_mul_f64 v[12:13], v[45:46], v[2:3]
	v_mul_f64 v[2:3], v[43:44], v[2:3]
	s_waitcnt vmcnt(7) lgkmcnt(5)
	v_mul_f64 v[58:59], v[65:66], v[6:7]
	v_mul_f64 v[6:7], v[63:64], v[6:7]
	s_waitcnt vmcnt(6) lgkmcnt(3)
	v_mul_f64 v[87:88], v[73:74], v[10:11]
	v_fma_f64 v[89:90], v[43:44], v[0:1], v[12:13]
	v_mul_f64 v[43:44], v[71:72], v[10:11]
	v_fma_f64 v[91:92], v[45:46], v[0:1], -v[2:3]
	ds_read_b128 v[0:3], v60 offset:19200
	v_fma_f64 v[58:59], v[63:64], v[4:5], v[58:59]
	v_fma_f64 v[63:64], v[65:66], v[4:5], -v[6:7]
	s_waitcnt vmcnt(5) lgkmcnt(3)
	v_mul_f64 v[4:5], v[85:86], v[21:22]
	v_mul_f64 v[6:7], v[83:84], v[21:22]
	v_fma_f64 v[21:22], v[71:72], v[8:9], v[87:88]
	ds_read_b128 v[10:13], v60 offset:12000
	v_fma_f64 v[65:66], v[73:74], v[8:9], -v[43:44]
	ds_read_b128 v[43:46], v60 offset:16800
	s_waitcnt vmcnt(4) lgkmcnt(2)
	v_mul_f64 v[8:9], v[2:3], v[25:26]
	v_mul_f64 v[25:26], v[0:1], v[25:26]
	s_waitcnt vmcnt(0) lgkmcnt(0)
	v_fma_f64 v[73:74], v[83:84], v[19:20], v[4:5]
	v_mul_f64 v[71:72], v[12:13], v[29:30]
	v_fma_f64 v[6:7], v[85:86], v[19:20], -v[6:7]
	v_mul_f64 v[4:5], v[10:11], v[29:30]
	v_mul_f64 v[29:30], v[69:70], v[37:38]
	v_add_f64 v[83:84], v[21:22], -v[89:90]
	s_barrier
	buffer_gl0_inv
	v_mul_f64 v[19:20], v[45:46], v[33:34]
	v_mul_f64 v[33:34], v[43:44], v[33:34]
	v_add_f64 v[87:88], v[65:66], -v[91:92]
	v_fma_f64 v[0:1], v[0:1], v[23:24], v[8:9]
	v_fma_f64 v[2:3], v[2:3], v[23:24], -v[25:26]
	v_mul_f64 v[23:24], v[67:68], v[37:38]
	v_mul_f64 v[25:26], v[77:78], v[41:42]
	;; [unrolled: 1-line block ×3, first 2 shown]
	v_fma_f64 v[41:42], v[10:11], v[27:28], v[71:72]
	v_fma_f64 v[27:28], v[12:13], v[27:28], -v[4:5]
	v_fma_f64 v[4:5], v[67:68], v[35:36], v[29:30]
	v_add_f64 v[29:30], v[65:66], v[6:7]
	v_fma_f64 v[8:9], v[43:44], v[31:32], v[19:20]
	v_fma_f64 v[10:11], v[45:46], v[31:32], -v[33:34]
	v_add_f64 v[19:20], v[21:22], v[73:74]
	v_add_f64 v[33:34], v[89:90], -v[21:22]
	v_add_f64 v[31:32], v[91:92], v[2:3]
	v_fma_f64 v[12:13], v[69:70], v[35:36], -v[23:24]
	v_add_f64 v[23:24], v[89:90], v[0:1]
	v_add_f64 v[35:36], v[0:1], -v[73:74]
	v_fma_f64 v[25:26], v[75:76], v[39:40], v[25:26]
	v_fma_f64 v[37:38], v[77:78], v[39:40], -v[37:38]
	v_add_f64 v[39:40], v[79:80], v[89:90]
	v_add_f64 v[43:44], v[81:82], v[91:92]
	v_add_f64 v[45:46], v[91:92], -v[65:66]
	v_add_f64 v[67:68], v[2:3], -v[6:7]
	;; [unrolled: 1-line block ×5, first 2 shown]
	v_fma_f64 v[29:30], v[29:30], -0.5, v[81:82]
	v_add_f64 v[91:92], v[91:92], -v[2:3]
	v_add_f64 v[89:90], v[89:90], -v[0:1]
	;; [unrolled: 1-line block ×3, first 2 shown]
	v_fma_f64 v[19:20], v[19:20], -0.5, v[79:80]
	v_fma_f64 v[31:32], v[31:32], -0.5, v[81:82]
	v_add_f64 v[77:78], v[12:13], -v[10:11]
	v_fma_f64 v[23:24], v[23:24], -0.5, v[79:80]
	v_add_f64 v[79:80], v[6:7], -v[2:3]
	v_add_f64 v[81:82], v[41:42], -v[58:59]
	v_add_f64 v[33:34], v[33:34], v[35:36]
	v_add_f64 v[35:36], v[8:9], -v[4:5]
	v_add_f64 v[39:40], v[39:40], v[21:22]
	;; [unrolled: 2-line block ×4, first 2 shown]
	v_add_f64 v[83:84], v[83:84], v[85:86]
	v_add_f64 v[85:86], v[58:59], v[4:5]
	v_add_f64 v[65:66], v[65:66], -v[6:7]
	v_add_f64 v[69:70], v[69:70], v[71:72]
	v_add_f64 v[71:72], v[10:11], -v[12:13]
	v_add_f64 v[75:76], v[75:76], v[77:78]
	v_add_f64 v[77:78], v[41:42], v[8:9]
	;; [unrolled: 1-line block ×8, first 2 shown]
	v_lshrrev_b16 v6, 11, v47
	v_add_f64 v[67:68], v[67:68], v[71:72]
	v_add_f64 v[71:72], v[25:26], v[58:59]
	v_add_f64 v[58:59], v[58:59], -v[4:5]
	v_fma_f64 v[77:78], v[77:78], -0.5, v[25:26]
	v_fma_f64 v[25:26], v[85:86], -0.5, v[25:26]
	v_add_f64 v[85:86], v[37:38], v[63:64]
	v_fma_f64 v[87:88], v[87:88], -0.5, v[37:38]
	v_add_f64 v[63:64], v[63:64], -v[12:13]
	v_fma_f64 v[37:38], v[81:82], -0.5, v[37:38]
	v_add_f64 v[81:82], v[41:42], -v[8:9]
	v_add_f64 v[39:40], v[39:40], v[0:1]
	v_mul_lo_u16 v0, v6, 50
	v_add_f64 v[43:44], v[43:44], v[2:3]
	v_add_f64 v[41:42], v[71:72], v[41:42]
	;; [unrolled: 1-line block ×3, first 2 shown]
	v_add_f64 v[27:28], v[27:28], -v[10:11]
	v_fma_f64 v[73:74], v[58:59], s[0:1], v[87:88]
	v_fma_f64 v[87:88], v[58:59], s[4:5], v[87:88]
	;; [unrolled: 1-line block ×4, first 2 shown]
	v_add_f64 v[7:8], v[41:42], v[8:9]
	v_add_f64 v[9:10], v[71:72], v[10:11]
	v_fma_f64 v[73:74], v[81:82], s[6:7], v[73:74]
	v_fma_f64 v[81:82], v[81:82], s[8:9], v[87:88]
	;; [unrolled: 1-line block ×8, first 2 shown]
	v_add_f64 v[7:8], v[7:8], v[4:5]
	v_sub_nc_u16 v5, v50, v0
	v_mov_b32_e32 v4, 4
	v_add_f64 v[9:10], v[9:10], v[12:13]
	v_mov_b32_e32 v13, 0x320
	v_fma_f64 v[73:74], v[75:76], s[14:15], v[73:74]
	v_fma_f64 v[75:76], v[75:76], s[14:15], v[81:82]
	;; [unrolled: 1-line block ×16, first 2 shown]
	v_add_f64 v[0:1], v[39:40], v[7:8]
	v_add_f64 v[7:8], v[39:40], -v[7:8]
	v_add_f64 v[2:3], v[43:44], v[9:10]
	v_add_f64 v[9:10], v[43:44], -v[9:10]
	v_fma_f64 v[25:26], v[35:36], s[14:15], v[25:26]
	v_fma_f64 v[41:42], v[91:92], s[8:9], v[63:64]
	;; [unrolled: 1-line block ×8, first 2 shown]
	v_mul_f64 v[77:78], v[73:74], s[8:9]
	v_mul_f64 v[73:74], v[73:74], s[20:21]
	v_fma_f64 v[31:32], v[89:90], s[8:9], v[31:32]
	v_fma_f64 v[20:21], v[21:22], s[8:9], v[29:30]
	;; [unrolled: 1-line block ×3, first 2 shown]
	v_mul_f64 v[58:59], v[85:86], s[4:5]
	v_mul_f64 v[81:82], v[85:86], s[14:15]
	v_fma_f64 v[23:24], v[91:92], s[6:7], v[23:24]
	v_mul_f64 v[35:36], v[37:38], s[4:5]
	v_mul_f64 v[37:38], v[37:38], s[16:17]
	v_mul_f64 v[69:70], v[75:76], s[8:9]
	v_mul_f64 v[75:76], v[75:76], s[18:19]
	v_fma_f64 v[41:42], v[83:84], s[14:15], v[41:42]
	v_fma_f64 v[11:12], v[33:34], s[14:15], v[63:64]
	;; [unrolled: 1-line block ×16, first 2 shown]
	v_add_f64 v[18:19], v[11:12], v[71:72]
	v_add_f64 v[20:21], v[63:64], v[65:66]
	v_add_f64 v[22:23], v[11:12], -v[71:72]
	v_add_f64 v[24:25], v[63:64], -v[65:66]
	v_mul_u32_u24_sdwa v11, v15, v13 dst_sel:DWORD dst_unused:UNUSED_PAD src0_sel:WORD_0 src1_sel:DWORD
	v_add_f64 v[26:27], v[41:42], v[31:32]
	v_add_f64 v[28:29], v[67:68], v[58:59]
	v_add_f64 v[30:31], v[41:42], -v[31:32]
	v_add_f64 v[34:35], v[73:74], v[81:82]
	v_add_f64 v[36:37], v[77:78], v[83:84]
	v_add_f64 v[38:39], v[79:80], v[69:70]
	v_add_f64 v[40:41], v[46:47], v[75:76]
	v_add_f64 v[32:33], v[67:68], -v[58:59]
	v_add_f64 v[42:43], v[73:74], -v[81:82]
	;; [unrolled: 1-line block ×5, first 2 shown]
	v_lshlrev_b32_sdwa v12, v4, v16 dst_sel:DWORD dst_unused:UNUSED_PAD src0_sel:DWORD src1_sel:BYTE_0
	v_mul_u32_u24_sdwa v13, v5, v17 dst_sel:DWORD dst_unused:UNUSED_PAD src0_sel:BYTE_0 src1_sel:DWORD
	v_lshlrev_b32_sdwa v4, v4, v5 dst_sel:DWORD dst_unused:UNUSED_PAD src0_sel:DWORD src1_sel:BYTE_0
	v_add3_u32 v11, 0, v11, v12
	v_lshlrev_b32_e32 v12, 4, v13
	ds_write_b128 v11, v[0:3]
	ds_write_b128 v11, v[7:10] offset:400
	ds_write_b128 v11, v[18:21] offset:80
	;; [unrolled: 1-line block ×9, first 2 shown]
	s_waitcnt lgkmcnt(0)
	s_barrier
	buffer_gl0_inv
	s_clause 0x8
	global_load_dwordx4 v[0:3], v12, s[12:13] offset:736
	global_load_dwordx4 v[7:10], v12, s[12:13] offset:752
	;; [unrolled: 1-line block ×9, first 2 shown]
	ds_read_b128 v[43:46], v62
	ds_read_b128 v[63:66], v61
	ds_read_b128 v[67:70], v60 offset:21600
	ds_read_b128 v[71:74], v60 offset:9600
	;; [unrolled: 1-line block ×3, first 2 shown]
	ds_read_b128 v[75:78], v14
	v_mov_b32_e32 v13, 0x1f40
	v_mul_u32_u24_sdwa v6, v6, v13 dst_sel:DWORD dst_unused:UNUSED_PAD src0_sel:WORD_0 src1_sel:DWORD
	v_add3_u32 v4, 0, v6, v4
	s_waitcnt vmcnt(8) lgkmcnt(5)
	v_mul_f64 v[58:59], v[45:46], v[2:3]
	v_mul_f64 v[2:3], v[43:44], v[2:3]
	s_waitcnt vmcnt(7) lgkmcnt(4)
	v_mul_f64 v[83:84], v[65:66], v[9:10]
	v_mul_f64 v[85:86], v[63:64], v[9:10]
	ds_read_b128 v[9:12], v60
	v_fma_f64 v[58:59], v[43:44], v[0:1], v[58:59]
	v_fma_f64 v[89:90], v[45:46], v[0:1], -v[2:3]
	ds_read_b128 v[43:46], v60 offset:12000
	s_waitcnt vmcnt(6) lgkmcnt(4)
	v_mul_f64 v[87:88], v[73:74], v[17:18]
	v_mul_f64 v[17:18], v[71:72], v[17:18]
	ds_read_b128 v[0:3], v60 offset:19200
	v_fma_f64 v[63:64], v[63:64], v[7:8], v[83:84]
	v_fma_f64 v[7:8], v[65:66], v[7:8], -v[85:86]
	s_waitcnt vmcnt(3) lgkmcnt(1)
	v_mul_f64 v[85:86], v[45:46], v[29:30]
	v_fma_f64 v[71:72], v[71:72], v[15:16], v[87:88]
	v_fma_f64 v[73:74], v[73:74], v[15:16], -v[17:18]
	ds_read_b128 v[15:18], v60 offset:16800
	v_mul_f64 v[65:66], v[81:82], v[21:22]
	v_mul_f64 v[21:22], v[79:80], v[21:22]
	s_waitcnt lgkmcnt(1)
	v_mul_f64 v[83:84], v[2:3], v[25:26]
	v_mul_f64 v[25:26], v[0:1], v[25:26]
	s_waitcnt vmcnt(0) lgkmcnt(0)
	s_barrier
	buffer_gl0_inv
	v_add_f64 v[91:92], v[73:74], -v[89:90]
	v_fma_f64 v[65:66], v[79:80], v[19:20], v[65:66]
	v_fma_f64 v[19:20], v[81:82], v[19:20], -v[21:22]
	v_mul_f64 v[21:22], v[43:44], v[29:30]
	v_mul_f64 v[29:30], v[17:18], v[33:34]
	;; [unrolled: 1-line block ×4, first 2 shown]
	v_fma_f64 v[0:1], v[0:1], v[23:24], v[83:84]
	v_fma_f64 v[2:3], v[2:3], v[23:24], -v[25:26]
	v_mul_f64 v[23:24], v[67:68], v[37:38]
	v_mul_f64 v[25:26], v[77:78], v[41:42]
	;; [unrolled: 1-line block ×3, first 2 shown]
	v_fma_f64 v[41:42], v[43:44], v[27:28], v[85:86]
	v_add_f64 v[43:44], v[58:59], -v[71:72]
	v_add_f64 v[85:86], v[71:72], -v[58:59]
	v_fma_f64 v[21:22], v[45:46], v[27:28], -v[21:22]
	v_fma_f64 v[15:16], v[15:16], v[31:32], v[29:30]
	v_fma_f64 v[27:28], v[67:68], v[35:36], v[79:80]
	v_fma_f64 v[17:18], v[17:18], v[31:32], -v[33:34]
	v_add_f64 v[29:30], v[71:72], v[65:66]
	v_add_f64 v[31:32], v[58:59], v[0:1]
	v_fma_f64 v[23:24], v[69:70], v[35:36], -v[23:24]
	v_add_f64 v[33:34], v[73:74], v[19:20]
	v_add_f64 v[35:36], v[89:90], v[2:3]
	v_add_f64 v[45:46], v[0:1], -v[65:66]
	v_fma_f64 v[25:26], v[75:76], v[39:40], v[25:26]
	v_fma_f64 v[37:38], v[77:78], v[39:40], -v[37:38]
	v_add_f64 v[39:40], v[89:90], -v[73:74]
	v_add_f64 v[67:68], v[2:3], -v[19:20]
	v_add_f64 v[69:70], v[9:10], v[58:59]
	v_add_f64 v[75:76], v[11:12], v[89:90]
	v_add_f64 v[77:78], v[63:64], -v[41:42]
	v_add_f64 v[87:88], v[65:66], -v[0:1]
	;; [unrolled: 1-line block ×6, first 2 shown]
	v_fma_f64 v[29:30], v[29:30], -0.5, v[9:10]
	v_fma_f64 v[9:10], v[31:32], -0.5, v[9:10]
	v_add_f64 v[83:84], v[23:24], -v[17:18]
	v_fma_f64 v[31:32], v[33:34], -0.5, v[11:12]
	v_fma_f64 v[11:12], v[35:36], -0.5, v[11:12]
	v_add_f64 v[33:34], v[19:20], -v[2:3]
	v_add_f64 v[35:36], v[41:42], -v[63:64]
	v_add_f64 v[43:44], v[43:44], v[45:46]
	v_add_f64 v[45:46], v[15:16], -v[27:28]
	v_add_f64 v[39:40], v[39:40], v[67:68]
	;; [unrolled: 2-line block ×4, first 2 shown]
	v_add_f64 v[87:88], v[63:64], v[27:28]
	v_add_f64 v[75:76], v[75:76], v[73:74]
	v_add_f64 v[73:74], v[73:74], -v[19:20]
	v_add_f64 v[77:78], v[77:78], v[79:80]
	v_add_f64 v[79:80], v[17:18], -v[23:24]
	v_add_f64 v[81:82], v[81:82], v[83:84]
	v_add_f64 v[83:84], v[41:42], v[15:16]
	;; [unrolled: 1-line block ×10, first 2 shown]
	v_add_f64 v[63:64], v[63:64], -v[27:28]
	v_fma_f64 v[83:84], v[83:84], -0.5, v[25:26]
	v_fma_f64 v[25:26], v[87:88], -0.5, v[25:26]
	v_add_f64 v[87:88], v[37:38], v[7:8]
	v_fma_f64 v[91:92], v[91:92], -0.5, v[37:38]
	v_add_f64 v[7:8], v[7:8], -v[23:24]
	v_fma_f64 v[37:38], v[45:46], -0.5, v[37:38]
	v_add_f64 v[45:46], v[41:42], -v[15:16]
	v_add_f64 v[0:1], v[65:66], v[0:1]
	v_add_f64 v[2:3], v[19:20], v[2:3]
	;; [unrolled: 1-line block ×4, first 2 shown]
	v_add_f64 v[21:22], v[21:22], -v[17:18]
	v_fma_f64 v[69:70], v[63:64], s[0:1], v[91:92]
	v_fma_f64 v[91:92], v[63:64], s[4:5], v[91:92]
	;; [unrolled: 1-line block ×4, first 2 shown]
	v_add_f64 v[15:16], v[41:42], v[15:16]
	v_add_f64 v[17:18], v[79:80], v[17:18]
	v_fma_f64 v[69:70], v[45:46], s[6:7], v[69:70]
	v_fma_f64 v[45:46], v[45:46], s[8:9], v[91:92]
	;; [unrolled: 1-line block ×8, first 2 shown]
	v_add_f64 v[15:16], v[15:16], v[27:28]
	v_add_f64 v[17:18], v[17:18], v[23:24]
	v_fma_f64 v[69:70], v[81:82], s[14:15], v[69:70]
	v_fma_f64 v[45:46], v[81:82], s[14:15], v[45:46]
	;; [unrolled: 1-line block ×24, first 2 shown]
	v_mul_f64 v[73:74], v[69:70], s[8:9]
	v_mul_f64 v[69:70], v[69:70], s[20:21]
	v_fma_f64 v[67:68], v[89:90], s[8:9], v[67:68]
	v_fma_f64 v[31:32], v[71:72], s[8:9], v[31:32]
	v_mul_f64 v[71:72], v[87:88], s[4:5]
	v_mul_f64 v[79:80], v[87:88], s[14:15]
	v_fma_f64 v[9:10], v[89:90], s[6:7], v[9:10]
	v_mul_f64 v[35:36], v[37:38], s[4:5]
	v_mul_f64 v[37:38], v[37:38], s[16:17]
	;; [unrolled: 3-line block ×3, first 2 shown]
	v_fma_f64 v[65:66], v[33:34], s[14:15], v[75:76]
	v_fma_f64 v[11:12], v[33:34], s[14:15], v[11:12]
	v_fma_f64 v[23:24], v[43:44], s[14:15], v[25:26]
	v_fma_f64 v[25:26], v[39:40], s[14:15], v[41:42]
	v_fma_f64 v[27:28], v[58:59], s[20:21], v[73:74]
	v_fma_f64 v[58:59], v[58:59], s[6:7], v[69:70]
	v_fma_f64 v[41:42], v[85:86], s[14:15], v[67:68]
	v_fma_f64 v[69:70], v[43:44], s[14:15], v[29:30]
	v_fma_f64 v[33:34], v[63:64], s[14:15], v[71:72]
	v_fma_f64 v[63:64], v[63:64], s[0:1], v[79:80]
	v_fma_f64 v[67:68], v[85:86], s[14:15], v[9:10]
	v_fma_f64 v[43:44], v[7:8], s[16:17], v[35:36]
	v_fma_f64 v[73:74], v[7:8], s[0:1], v[37:38]
	v_fma_f64 v[71:72], v[39:40], s[14:15], v[31:32]
	v_fma_f64 v[75:76], v[21:22], s[18:19], v[77:78]
	v_fma_f64 v[77:78], v[21:22], s[6:7], v[45:46]
	v_add_f64 v[7:8], v[0:1], v[15:16]
	v_add_f64 v[9:10], v[2:3], v[17:18]
	v_add_f64 v[15:16], v[0:1], -v[15:16]
	v_add_f64 v[17:18], v[2:3], -v[17:18]
	v_cmp_gt_u32_e64 s0, 50, v50
	v_add_f64 v[19:20], v[23:24], v[27:28]
	v_add_f64 v[21:22], v[25:26], v[58:59]
	v_add_f64 v[23:24], v[23:24], -v[27:28]
	v_add_f64 v[25:26], v[25:26], -v[58:59]
	v_add_f64 v[27:28], v[41:42], v[33:34]
	v_add_f64 v[29:30], v[65:66], v[63:64]
	v_add_f64 v[31:32], v[41:42], -v[33:34]
	v_add_f64 v[35:36], v[67:68], v[43:44]
	v_add_f64 v[37:38], v[11:12], v[73:74]
	;; [unrolled: 3-line block ×3, first 2 shown]
	v_add_f64 v[43:44], v[67:68], -v[43:44]
	v_add_f64 v[45:46], v[11:12], -v[73:74]
	;; [unrolled: 1-line block ×4, first 2 shown]
	ds_write_b128 v4, v[7:10]
	ds_write_b128 v4, v[15:18] offset:4000
	ds_write_b128 v4, v[19:22] offset:800
	;; [unrolled: 1-line block ×9, first 2 shown]
	s_waitcnt lgkmcnt(0)
	s_barrier
	buffer_gl0_inv
	ds_read_b128 v[16:19], v60
	ds_read_b128 v[44:47], v60 offset:8000
	ds_read_b128 v[12:15], v14
	ds_read_b128 v[36:39], v60 offset:16000
	ds_read_b128 v[24:27], v60 offset:18400
	;; [unrolled: 1-line block ×4, first 2 shown]
	ds_read_b128 v[20:23], v62
	ds_read_b128 v[32:35], v60 offset:20800
                                        ; implicit-def: $vgpr10_vgpr11
                                        ; implicit-def: $vgpr6_vgpr7
	s_and_saveexec_b32 s1, s0
	s_cbranch_execz .LBB0_15
; %bb.14:
	ds_read_b128 v[0:3], v61
	ds_read_b128 v[4:7], v60 offset:15200
	ds_read_b128 v[8:11], v60 offset:23200
.LBB0_15:
	s_or_b32 exec_lo, exec_lo, s1
	v_lshlrev_b32_e32 v58, 1, v50
	v_mov_b32_e32 v59, 0
	s_mov_b32 s4, 0xe8584caa
	s_mov_b32 s5, 0xbfebb67a
	;; [unrolled: 1-line block ×4, first 2 shown]
	v_lshlrev_b64 v[63:64], 4, v[58:59]
	v_lshlrev_b32_e32 v58, 1, v54
	v_lshlrev_b64 v[65:66], 4, v[58:59]
	v_add_co_u32 v67, s1, s12, v63
	v_add_co_ci_u32_e64 v68, s1, s13, v64, s1
	v_lshlrev_b32_e32 v58, 1, v57
	v_add_co_u32 v63, s1, 0x1800, v67
	v_add_co_ci_u32_e64 v64, s1, 0, v68, s1
	v_add_co_u32 v67, s1, 0x1ef0, v67
	v_add_co_ci_u32_e64 v68, s1, 0, v68, s1
	;; [unrolled: 2-line block ×3, first 2 shown]
	s_clause 0x1
	global_load_dwordx4 v[63:66], v[63:64], off offset:1776
	global_load_dwordx4 v[67:70], v[67:68], off offset:16
	v_lshlrev_b64 v[71:72], 4, v[58:59]
	v_add_co_u32 v75, s1, 0x1ef0, v73
	v_add_co_ci_u32_e64 v76, s1, 0, v74, s1
	v_add_co_u32 v58, s1, s12, v71
	v_add_co_ci_u32_e64 v77, s1, s13, v72, s1
	;; [unrolled: 2-line block ×5, first 2 shown]
	s_clause 0x3
	global_load_dwordx4 v[71:74], v[71:72], off offset:1776
	global_load_dwordx4 v[75:78], v[75:76], off offset:16
	;; [unrolled: 1-line block ×4, first 2 shown]
	s_waitcnt vmcnt(0) lgkmcnt(0)
	s_barrier
	buffer_gl0_inv
	v_mul_f64 v[87:88], v[46:47], v[65:66]
	v_mul_f64 v[65:66], v[44:45], v[65:66]
	;; [unrolled: 1-line block ×10, first 2 shown]
	v_fma_f64 v[44:45], v[44:45], v[63:64], v[87:88]
	v_fma_f64 v[46:47], v[46:47], v[63:64], -v[65:66]
	v_mul_f64 v[63:64], v[28:29], v[81:82]
	v_mul_f64 v[65:66], v[32:33], v[85:86]
	v_fma_f64 v[36:37], v[36:37], v[67:68], v[89:90]
	v_fma_f64 v[38:39], v[38:39], v[67:68], -v[69:70]
	v_fma_f64 v[40:41], v[40:41], v[71:72], v[91:92]
	v_fma_f64 v[24:25], v[24:25], v[75:76], v[93:94]
	v_fma_f64 v[42:43], v[42:43], v[71:72], -v[73:74]
	v_fma_f64 v[26:27], v[26:27], v[75:76], -v[77:78]
	v_fma_f64 v[28:29], v[28:29], v[79:80], v[95:96]
	v_fma_f64 v[32:33], v[32:33], v[83:84], v[97:98]
	v_add_f64 v[75:76], v[16:17], v[44:45]
	v_fma_f64 v[30:31], v[30:31], v[79:80], -v[63:64]
	v_fma_f64 v[34:35], v[34:35], v[83:84], -v[65:66]
	v_add_f64 v[63:64], v[44:45], v[36:37]
	v_add_f64 v[65:66], v[46:47], v[38:39]
	v_add_f64 v[77:78], v[46:47], -v[38:39]
	v_add_f64 v[46:47], v[18:19], v[46:47]
	v_add_f64 v[44:45], v[44:45], -v[36:37]
	v_add_f64 v[79:80], v[12:13], v[40:41]
	v_add_f64 v[67:68], v[40:41], v[24:25]
	;; [unrolled: 1-line block ×6, first 2 shown]
	v_add_f64 v[42:43], v[42:43], -v[26:27]
	v_add_f64 v[40:41], v[40:41], -v[24:25]
	v_add_f64 v[85:86], v[22:23], v[30:31]
	v_add_f64 v[73:74], v[30:31], v[34:35]
	v_fma_f64 v[63:64], v[63:64], -0.5, v[16:17]
	v_fma_f64 v[65:66], v[65:66], -0.5, v[18:19]
	v_add_f64 v[87:88], v[30:31], -v[34:35]
	v_add_f64 v[89:90], v[28:29], -v[32:33]
	v_add_f64 v[17:18], v[79:80], v[24:25]
	v_fma_f64 v[67:68], v[67:68], -0.5, v[12:13]
	v_add_nc_u32_e32 v12, v51, v55
	v_fma_f64 v[69:70], v[69:70], -0.5, v[14:15]
	v_add_f64 v[13:14], v[75:76], v[36:37]
	v_fma_f64 v[71:72], v[71:72], -0.5, v[20:21]
	v_add_f64 v[15:16], v[46:47], v[38:39]
	v_add_f64 v[19:20], v[81:82], v[26:27]
	v_fma_f64 v[73:74], v[73:74], -0.5, v[22:23]
	v_fma_f64 v[25:26], v[77:78], s[4:5], v[63:64]
	v_fma_f64 v[27:28], v[44:45], s[6:7], v[65:66]
	v_add_f64 v[21:22], v[83:84], v[32:33]
	v_fma_f64 v[29:30], v[77:78], s[6:7], v[63:64]
	v_fma_f64 v[31:32], v[44:45], s[4:5], v[65:66]
	v_add_f64 v[23:24], v[85:86], v[34:35]
	v_fma_f64 v[33:34], v[42:43], s[4:5], v[67:68]
	v_fma_f64 v[37:38], v[42:43], s[6:7], v[67:68]
	;; [unrolled: 1-line block ×8, first 2 shown]
	ds_write_b128 v60, v[13:16]
	ds_write_b128 v60, v[25:28] offset:8000
	ds_write_b128 v60, v[29:32] offset:16000
	ds_write_b128 v12, v[17:20]
	ds_write_b128 v12, v[33:36] offset:8000
	ds_write_b128 v12, v[37:40] offset:16000
	;; [unrolled: 3-line block ×3, first 2 shown]
	s_and_saveexec_b32 s1, s0
	s_cbranch_execz .LBB0_17
; %bb.16:
	v_subrev_nc_u32_e32 v13, 50, v50
	v_cndmask_b32_e64 v13, v13, v56, s0
	v_lshlrev_b32_e32 v58, 1, v13
	v_lshlrev_b64 v[13:14], 4, v[58:59]
	v_add_co_u32 v15, s0, s12, v13
	v_add_co_ci_u32_e64 v16, s0, s13, v14, s0
	v_add_co_u32 v13, s0, 0x1800, v15
	v_add_co_ci_u32_e64 v14, s0, 0, v16, s0
	;; [unrolled: 2-line block ×3, first 2 shown]
	s_clause 0x1
	global_load_dwordx4 v[13:16], v[13:14], off offset:1776
	global_load_dwordx4 v[17:20], v[17:18], off offset:16
	s_waitcnt vmcnt(1)
	v_mul_f64 v[21:22], v[4:5], v[15:16]
	s_waitcnt vmcnt(0)
	v_mul_f64 v[23:24], v[8:9], v[19:20]
	v_mul_f64 v[15:16], v[6:7], v[15:16]
	;; [unrolled: 1-line block ×3, first 2 shown]
	v_fma_f64 v[6:7], v[6:7], v[13:14], -v[21:22]
	v_fma_f64 v[10:11], v[10:11], v[17:18], -v[23:24]
	v_fma_f64 v[4:5], v[4:5], v[13:14], v[15:16]
	v_fma_f64 v[8:9], v[8:9], v[17:18], v[19:20]
	v_add_f64 v[19:20], v[2:3], v[6:7]
	v_add_f64 v[13:14], v[6:7], v[10:11]
	v_add_f64 v[21:22], v[6:7], -v[10:11]
	v_add_f64 v[15:16], v[4:5], v[8:9]
	v_add_f64 v[17:18], v[4:5], -v[8:9]
	v_add_f64 v[4:5], v[0:1], v[4:5]
	v_fma_f64 v[13:14], v[13:14], -0.5, v[2:3]
	v_add_f64 v[2:3], v[19:20], v[10:11]
	v_fma_f64 v[15:16], v[15:16], -0.5, v[0:1]
	v_add_f64 v[0:1], v[4:5], v[8:9]
	v_fma_f64 v[10:11], v[17:18], s[6:7], v[13:14]
	v_fma_f64 v[6:7], v[17:18], s[4:5], v[13:14]
	;; [unrolled: 1-line block ×4, first 2 shown]
	ds_write_b128 v60, v[0:3] offset:7200
	ds_write_b128 v60, v[8:11] offset:15200
	;; [unrolled: 1-line block ×3, first 2 shown]
.LBB0_17:
	s_or_b32 exec_lo, exec_lo, s1
	s_waitcnt lgkmcnt(0)
	s_barrier
	buffer_gl0_inv
	ds_read_b128 v[4:7], v60
	v_lshlrev_b32_e32 v0, 4, v50
	s_add_u32 s1, s12, 0x5d70
	s_addc_u32 s4, s13, 0
	s_mov_b32 s5, exec_lo
                                        ; implicit-def: $vgpr8_vgpr9
                                        ; implicit-def: $vgpr10_vgpr11
	v_sub_nc_u32_e32 v13, 0, v0
                                        ; implicit-def: $vgpr0_vgpr1
	v_cmpx_ne_u32_e32 0, v50
	s_xor_b32 s5, exec_lo, s5
	s_cbranch_execz .LBB0_19
; %bb.18:
	v_mov_b32_e32 v51, 0
	v_lshlrev_b64 v[0:1], 4, v[50:51]
	v_add_co_u32 v0, s0, s1, v0
	v_add_co_ci_u32_e64 v1, s0, s4, v1, s0
	global_load_dwordx4 v[14:17], v[0:1], off
	ds_read_b128 v[0:3], v13 offset:24000
	s_waitcnt lgkmcnt(0)
	v_add_f64 v[8:9], v[4:5], -v[0:1]
	v_add_f64 v[10:11], v[6:7], v[2:3]
	v_add_f64 v[2:3], v[6:7], -v[2:3]
	v_add_f64 v[0:1], v[4:5], v[0:1]
	v_mul_f64 v[6:7], v[8:9], 0.5
	v_mul_f64 v[4:5], v[10:11], 0.5
	;; [unrolled: 1-line block ×3, first 2 shown]
	s_waitcnt vmcnt(0)
	v_mul_f64 v[8:9], v[6:7], v[16:17]
	v_fma_f64 v[10:11], v[4:5], v[16:17], v[2:3]
	v_fma_f64 v[2:3], v[4:5], v[16:17], -v[2:3]
	v_fma_f64 v[18:19], v[0:1], 0.5, v[8:9]
	v_fma_f64 v[0:1], v[0:1], 0.5, -v[8:9]
	v_fma_f64 v[10:11], -v[14:15], v[6:7], v[10:11]
	v_fma_f64 v[2:3], -v[14:15], v[6:7], v[2:3]
	v_fma_f64 v[8:9], v[4:5], v[14:15], v[18:19]
	v_fma_f64 v[0:1], -v[4:5], v[14:15], v[0:1]
                                        ; implicit-def: $vgpr4_vgpr5
.LBB0_19:
	s_andn2_saveexec_b32 s0, s5
	s_cbranch_execz .LBB0_21
; %bb.20:
	v_mov_b32_e32 v16, 0
	s_waitcnt lgkmcnt(0)
	v_add_f64 v[8:9], v[4:5], v[6:7]
	v_add_f64 v[0:1], v[4:5], -v[6:7]
	v_mov_b32_e32 v10, 0
	v_mov_b32_e32 v11, 0
	ds_read_b64 v[14:15], v16 offset:12008
	v_mov_b32_e32 v2, v10
	v_mov_b32_e32 v3, v11
	s_waitcnt lgkmcnt(0)
	v_xor_b32_e32 v15, 0x80000000, v15
	ds_write_b64 v16, v[14:15] offset:12008
.LBB0_21:
	s_or_b32 exec_lo, exec_lo, s0
	v_mov_b32_e32 v55, 0
	ds_write2_b64 v60, v[8:9], v[10:11] offset1:1
	ds_write_b128 v13, v[0:3] offset:24000
	s_waitcnt lgkmcnt(2)
	v_lshlrev_b64 v[4:5], 4, v[54:55]
	v_mov_b32_e32 v58, v55
	v_add_nc_u32_e32 v54, 0x258, v50
	v_lshlrev_b64 v[14:15], 4, v[57:58]
	v_add_co_u32 v4, s0, s1, v4
	v_add_co_ci_u32_e64 v5, s0, s4, v5, s0
	v_mov_b32_e32 v57, v55
	v_add_co_u32 v14, s0, s1, v14
	global_load_dwordx4 v[4:7], v[4:5], off
	v_add_co_ci_u32_e64 v15, s0, s4, v15, s0
	v_lshlrev_b64 v[18:19], 4, v[56:57]
	global_load_dwordx4 v[14:17], v[14:15], off
	ds_read_b128 v[0:3], v12
	ds_read_b128 v[8:11], v13 offset:21600
	v_add_co_u32 v18, s0, s1, v18
	v_add_co_ci_u32_e64 v19, s0, s4, v19, s0
	global_load_dwordx4 v[18:21], v[18:19], off
	s_waitcnt lgkmcnt(0)
	v_add_f64 v[22:23], v[0:1], -v[8:9]
	v_add_f64 v[24:25], v[2:3], v[10:11]
	v_add_f64 v[2:3], v[2:3], -v[10:11]
	v_add_f64 v[0:1], v[0:1], v[8:9]
	v_mul_f64 v[10:11], v[22:23], 0.5
	v_mul_f64 v[22:23], v[24:25], 0.5
	;; [unrolled: 1-line block ×3, first 2 shown]
	s_waitcnt vmcnt(2)
	v_mul_f64 v[8:9], v[10:11], v[6:7]
	v_fma_f64 v[24:25], v[22:23], v[6:7], v[2:3]
	v_fma_f64 v[2:3], v[22:23], v[6:7], -v[2:3]
	v_fma_f64 v[6:7], v[0:1], 0.5, v[8:9]
	v_fma_f64 v[0:1], v[0:1], 0.5, -v[8:9]
	v_fma_f64 v[8:9], -v[4:5], v[10:11], v[24:25]
	v_fma_f64 v[2:3], -v[4:5], v[10:11], v[2:3]
	v_lshlrev_b64 v[10:11], 4, v[54:55]
	v_fma_f64 v[6:7], v[22:23], v[4:5], v[6:7]
	v_fma_f64 v[0:1], -v[22:23], v[4:5], v[0:1]
	ds_write_b64 v12, v[8:9] offset:8
	ds_write_b64 v13, v[2:3] offset:21608
	ds_write_b64 v12, v[6:7]
	ds_write_b64 v13, v[0:1] offset:21600
	v_add_co_u32 v8, s0, s1, v10
	ds_read_b128 v[0:3], v62
	ds_read_b128 v[4:7], v13 offset:19200
	v_add_co_ci_u32_e64 v9, s0, s4, v11, s0
	global_load_dwordx4 v[8:11], v[8:9], off
	s_waitcnt lgkmcnt(0)
	v_add_f64 v[22:23], v[0:1], -v[4:5]
	v_add_f64 v[24:25], v[2:3], v[6:7]
	v_add_f64 v[2:3], v[2:3], -v[6:7]
	v_add_f64 v[0:1], v[0:1], v[4:5]
	v_mul_f64 v[6:7], v[22:23], 0.5
	v_mul_f64 v[22:23], v[24:25], 0.5
	;; [unrolled: 1-line block ×3, first 2 shown]
	s_waitcnt vmcnt(2)
	v_mul_f64 v[4:5], v[6:7], v[16:17]
	v_fma_f64 v[24:25], v[22:23], v[16:17], v[2:3]
	v_fma_f64 v[2:3], v[22:23], v[16:17], -v[2:3]
	v_fma_f64 v[16:17], v[0:1], 0.5, v[4:5]
	v_fma_f64 v[0:1], v[0:1], 0.5, -v[4:5]
	v_fma_f64 v[4:5], -v[14:15], v[6:7], v[24:25]
	v_fma_f64 v[2:3], -v[14:15], v[6:7], v[2:3]
	v_fma_f64 v[6:7], v[22:23], v[14:15], v[16:17]
	v_fma_f64 v[0:1], -v[22:23], v[14:15], v[0:1]
	ds_write2_b64 v62, v[6:7], v[4:5] offset1:1
	ds_write_b128 v13, v[0:3] offset:19200
	ds_read_b128 v[0:3], v61
	ds_read_b128 v[4:7], v13 offset:16800
	s_waitcnt lgkmcnt(0)
	v_add_f64 v[14:15], v[0:1], -v[4:5]
	v_add_f64 v[16:17], v[2:3], v[6:7]
	v_add_f64 v[2:3], v[2:3], -v[6:7]
	v_add_f64 v[0:1], v[0:1], v[4:5]
	v_mul_f64 v[6:7], v[14:15], 0.5
	v_mul_f64 v[14:15], v[16:17], 0.5
	;; [unrolled: 1-line block ×3, first 2 shown]
	s_waitcnt vmcnt(1)
	v_mul_f64 v[4:5], v[6:7], v[20:21]
	v_fma_f64 v[16:17], v[14:15], v[20:21], v[2:3]
	v_fma_f64 v[2:3], v[14:15], v[20:21], -v[2:3]
	v_fma_f64 v[20:21], v[0:1], 0.5, v[4:5]
	v_fma_f64 v[0:1], v[0:1], 0.5, -v[4:5]
	v_fma_f64 v[4:5], -v[18:19], v[6:7], v[16:17]
	v_fma_f64 v[2:3], -v[18:19], v[6:7], v[2:3]
	v_fma_f64 v[6:7], v[14:15], v[18:19], v[20:21]
	v_fma_f64 v[0:1], -v[14:15], v[18:19], v[0:1]
	ds_write2_b64 v61, v[6:7], v[4:5] offset1:1
	ds_write_b128 v13, v[0:3] offset:16800
	ds_read_b128 v[0:3], v60 offset:9600
	ds_read_b128 v[4:7], v13 offset:14400
	s_waitcnt lgkmcnt(0)
	v_add_f64 v[14:15], v[0:1], -v[4:5]
	v_add_f64 v[16:17], v[2:3], v[6:7]
	v_add_f64 v[2:3], v[2:3], -v[6:7]
	v_add_f64 v[0:1], v[0:1], v[4:5]
	v_mul_f64 v[6:7], v[14:15], 0.5
	v_mul_f64 v[14:15], v[16:17], 0.5
	;; [unrolled: 1-line block ×3, first 2 shown]
	s_waitcnt vmcnt(0)
	v_mul_f64 v[4:5], v[6:7], v[10:11]
	v_fma_f64 v[16:17], v[14:15], v[10:11], v[2:3]
	v_fma_f64 v[2:3], v[14:15], v[10:11], -v[2:3]
	v_fma_f64 v[10:11], v[0:1], 0.5, v[4:5]
	v_fma_f64 v[0:1], v[0:1], 0.5, -v[4:5]
	v_fma_f64 v[4:5], -v[8:9], v[6:7], v[16:17]
	v_fma_f64 v[2:3], -v[8:9], v[6:7], v[2:3]
	v_fma_f64 v[6:7], v[14:15], v[8:9], v[10:11]
	v_fma_f64 v[0:1], -v[14:15], v[8:9], v[0:1]
	v_add_nc_u32_e32 v8, 0x2000, v60
	ds_write2_b64 v8, v[6:7], v[4:5] offset0:176 offset1:177
	ds_write_b128 v13, v[0:3] offset:14400
	s_waitcnt lgkmcnt(0)
	s_barrier
	buffer_gl0_inv
	s_and_saveexec_b32 s0, vcc_lo
	s_cbranch_execz .LBB0_24
; %bb.22:
	v_mul_lo_u32 v2, s3, v52
	v_mul_lo_u32 v3, s2, v53
	v_mad_u64_u32 v[0:1], null, s2, v52, 0
	v_lshl_add_u32 v26, v50, 4, 0
	v_mov_b32_e32 v51, v55
	v_lshlrev_b64 v[10:11], 4, v[48:49]
	v_add_nc_u32_e32 v54, 0x96, v50
	v_add3_u32 v1, v1, v3, v2
	ds_read_b128 v[2:5], v26
	ds_read_b128 v[6:9], v26 offset:2400
	v_lshlrev_b64 v[12:13], 4, v[50:51]
	v_lshlrev_b64 v[14:15], 4, v[54:55]
	v_add_nc_u32_e32 v54, 0x12c, v50
	v_lshlrev_b64 v[0:1], 4, v[0:1]
	v_add_co_u32 v0, vcc_lo, s10, v0
	v_add_co_ci_u32_e32 v1, vcc_lo, s11, v1, vcc_lo
	v_add_co_u32 v0, vcc_lo, v0, v10
	v_add_co_ci_u32_e32 v1, vcc_lo, v1, v11, vcc_lo
	;; [unrolled: 2-line block ×4, first 2 shown]
	v_lshlrev_b64 v[14:15], 4, v[54:55]
	v_add_nc_u32_e32 v54, 0x1c2, v50
	s_waitcnt lgkmcnt(1)
	global_store_dwordx4 v[10:11], v[2:5], off
	s_waitcnt lgkmcnt(0)
	global_store_dwordx4 v[12:13], v[6:9], off
	ds_read_b128 v[2:5], v26 offset:4800
	ds_read_b128 v[6:9], v26 offset:7200
	v_lshlrev_b64 v[18:19], 4, v[54:55]
	v_add_nc_u32_e32 v54, 0x258, v50
	v_add_co_u32 v20, vcc_lo, v0, v14
	v_add_co_ci_u32_e32 v21, vcc_lo, v1, v15, vcc_lo
	ds_read_b128 v[10:13], v26 offset:9600
	ds_read_b128 v[14:17], v26 offset:12000
	v_lshlrev_b64 v[22:23], 4, v[54:55]
	v_add_nc_u32_e32 v54, 0x2ee, v50
	v_add_co_u32 v18, vcc_lo, v0, v18
	v_add_co_ci_u32_e32 v19, vcc_lo, v1, v19, vcc_lo
	v_lshlrev_b64 v[24:25], 4, v[54:55]
	v_add_nc_u32_e32 v54, 0x384, v50
	v_add_co_u32 v22, vcc_lo, v0, v22
	s_waitcnt lgkmcnt(3)
	global_store_dwordx4 v[20:21], v[2:5], off
	v_add_co_ci_u32_e32 v23, vcc_lo, v1, v23, vcc_lo
	v_lshlrev_b64 v[2:3], 4, v[54:55]
	v_add_nc_u32_e32 v54, 0x41a, v50
	v_add_co_u32 v24, vcc_lo, v0, v24
	v_add_co_ci_u32_e32 v25, vcc_lo, v1, v25, vcc_lo
	v_lshlrev_b64 v[20:21], 4, v[54:55]
	v_add_nc_u32_e32 v54, 0x4b0, v50
	s_waitcnt lgkmcnt(2)
	global_store_dwordx4 v[18:19], v[6:9], off
	s_waitcnt lgkmcnt(1)
	global_store_dwordx4 v[22:23], v[10:13], off
	;; [unrolled: 2-line block ×3, first 2 shown]
	v_add_co_u32 v18, vcc_lo, v0, v2
	v_add_co_ci_u32_e32 v19, vcc_lo, v1, v3, vcc_lo
	ds_read_b128 v[2:5], v26 offset:14400
	ds_read_b128 v[6:9], v26 offset:16800
	;; [unrolled: 1-line block ×4, first 2 shown]
	v_lshlrev_b64 v[22:23], 4, v[54:55]
	v_add_nc_u32_e32 v54, 0x546, v50
	v_add_co_u32 v20, vcc_lo, v0, v20
	v_add_co_ci_u32_e32 v21, vcc_lo, v1, v21, vcc_lo
	v_lshlrev_b64 v[24:25], 4, v[54:55]
	v_add_co_u32 v22, vcc_lo, v0, v22
	v_add_co_ci_u32_e32 v23, vcc_lo, v1, v23, vcc_lo
	v_add_co_u32 v24, vcc_lo, v0, v24
	v_add_co_ci_u32_e32 v25, vcc_lo, v1, v25, vcc_lo
	v_cmp_eq_u32_e32 vcc_lo, 0x95, v50
	s_waitcnt lgkmcnt(3)
	global_store_dwordx4 v[18:19], v[2:5], off
	s_waitcnt lgkmcnt(2)
	global_store_dwordx4 v[20:21], v[6:9], off
	;; [unrolled: 2-line block ×4, first 2 shown]
	s_and_b32 exec_lo, exec_lo, vcc_lo
	s_cbranch_execz .LBB0_24
; %bb.23:
	v_mov_b32_e32 v2, 0
	v_add_co_u32 v0, vcc_lo, 0x5800, v0
	v_add_co_ci_u32_e32 v1, vcc_lo, 0, v1, vcc_lo
	ds_read_b128 v[2:5], v2 offset:24000
	s_waitcnt lgkmcnt(0)
	global_store_dwordx4 v[0:1], v[2:5], off offset:1472
.LBB0_24:
	s_endpgm
	.section	.rodata,"a",@progbits
	.p2align	6, 0x0
	.amdhsa_kernel fft_rtc_back_len1500_factors_5_10_10_3_wgs_150_tpt_150_halfLds_dp_op_CI_CI_unitstride_sbrr_R2C_dirReg
		.amdhsa_group_segment_fixed_size 0
		.amdhsa_private_segment_fixed_size 0
		.amdhsa_kernarg_size 104
		.amdhsa_user_sgpr_count 6
		.amdhsa_user_sgpr_private_segment_buffer 1
		.amdhsa_user_sgpr_dispatch_ptr 0
		.amdhsa_user_sgpr_queue_ptr 0
		.amdhsa_user_sgpr_kernarg_segment_ptr 1
		.amdhsa_user_sgpr_dispatch_id 0
		.amdhsa_user_sgpr_flat_scratch_init 0
		.amdhsa_user_sgpr_private_segment_size 0
		.amdhsa_wavefront_size32 1
		.amdhsa_uses_dynamic_stack 0
		.amdhsa_system_sgpr_private_segment_wavefront_offset 0
		.amdhsa_system_sgpr_workgroup_id_x 1
		.amdhsa_system_sgpr_workgroup_id_y 0
		.amdhsa_system_sgpr_workgroup_id_z 0
		.amdhsa_system_sgpr_workgroup_info 0
		.amdhsa_system_vgpr_workitem_id 0
		.amdhsa_next_free_vgpr 99
		.amdhsa_next_free_sgpr 27
		.amdhsa_reserve_vcc 1
		.amdhsa_reserve_flat_scratch 0
		.amdhsa_float_round_mode_32 0
		.amdhsa_float_round_mode_16_64 0
		.amdhsa_float_denorm_mode_32 3
		.amdhsa_float_denorm_mode_16_64 3
		.amdhsa_dx10_clamp 1
		.amdhsa_ieee_mode 1
		.amdhsa_fp16_overflow 0
		.amdhsa_workgroup_processor_mode 1
		.amdhsa_memory_ordered 1
		.amdhsa_forward_progress 0
		.amdhsa_shared_vgpr_count 0
		.amdhsa_exception_fp_ieee_invalid_op 0
		.amdhsa_exception_fp_denorm_src 0
		.amdhsa_exception_fp_ieee_div_zero 0
		.amdhsa_exception_fp_ieee_overflow 0
		.amdhsa_exception_fp_ieee_underflow 0
		.amdhsa_exception_fp_ieee_inexact 0
		.amdhsa_exception_int_div_zero 0
	.end_amdhsa_kernel
	.text
.Lfunc_end0:
	.size	fft_rtc_back_len1500_factors_5_10_10_3_wgs_150_tpt_150_halfLds_dp_op_CI_CI_unitstride_sbrr_R2C_dirReg, .Lfunc_end0-fft_rtc_back_len1500_factors_5_10_10_3_wgs_150_tpt_150_halfLds_dp_op_CI_CI_unitstride_sbrr_R2C_dirReg
                                        ; -- End function
	.section	.AMDGPU.csdata,"",@progbits
; Kernel info:
; codeLenInByte = 9904
; NumSgprs: 29
; NumVgprs: 99
; ScratchSize: 0
; MemoryBound: 0
; FloatMode: 240
; IeeeMode: 1
; LDSByteSize: 0 bytes/workgroup (compile time only)
; SGPRBlocks: 3
; VGPRBlocks: 12
; NumSGPRsForWavesPerEU: 29
; NumVGPRsForWavesPerEU: 99
; Occupancy: 9
; WaveLimiterHint : 1
; COMPUTE_PGM_RSRC2:SCRATCH_EN: 0
; COMPUTE_PGM_RSRC2:USER_SGPR: 6
; COMPUTE_PGM_RSRC2:TRAP_HANDLER: 0
; COMPUTE_PGM_RSRC2:TGID_X_EN: 1
; COMPUTE_PGM_RSRC2:TGID_Y_EN: 0
; COMPUTE_PGM_RSRC2:TGID_Z_EN: 0
; COMPUTE_PGM_RSRC2:TIDIG_COMP_CNT: 0
	.text
	.p2alignl 6, 3214868480
	.fill 48, 4, 3214868480
	.type	__hip_cuid_7e4f5fe1c71d49f8,@object ; @__hip_cuid_7e4f5fe1c71d49f8
	.section	.bss,"aw",@nobits
	.globl	__hip_cuid_7e4f5fe1c71d49f8
__hip_cuid_7e4f5fe1c71d49f8:
	.byte	0                               ; 0x0
	.size	__hip_cuid_7e4f5fe1c71d49f8, 1

	.ident	"AMD clang version 19.0.0git (https://github.com/RadeonOpenCompute/llvm-project roc-6.4.0 25133 c7fe45cf4b819c5991fe208aaa96edf142730f1d)"
	.section	".note.GNU-stack","",@progbits
	.addrsig
	.addrsig_sym __hip_cuid_7e4f5fe1c71d49f8
	.amdgpu_metadata
---
amdhsa.kernels:
  - .args:
      - .actual_access:  read_only
        .address_space:  global
        .offset:         0
        .size:           8
        .value_kind:     global_buffer
      - .offset:         8
        .size:           8
        .value_kind:     by_value
      - .actual_access:  read_only
        .address_space:  global
        .offset:         16
        .size:           8
        .value_kind:     global_buffer
      - .actual_access:  read_only
        .address_space:  global
        .offset:         24
        .size:           8
        .value_kind:     global_buffer
      - .actual_access:  read_only
        .address_space:  global
        .offset:         32
        .size:           8
        .value_kind:     global_buffer
      - .offset:         40
        .size:           8
        .value_kind:     by_value
      - .actual_access:  read_only
        .address_space:  global
        .offset:         48
        .size:           8
        .value_kind:     global_buffer
      - .actual_access:  read_only
        .address_space:  global
        .offset:         56
        .size:           8
        .value_kind:     global_buffer
      - .offset:         64
        .size:           4
        .value_kind:     by_value
      - .actual_access:  read_only
        .address_space:  global
        .offset:         72
        .size:           8
        .value_kind:     global_buffer
      - .actual_access:  read_only
        .address_space:  global
        .offset:         80
        .size:           8
        .value_kind:     global_buffer
      - .actual_access:  read_only
        .address_space:  global
        .offset:         88
        .size:           8
        .value_kind:     global_buffer
      - .actual_access:  write_only
        .address_space:  global
        .offset:         96
        .size:           8
        .value_kind:     global_buffer
    .group_segment_fixed_size: 0
    .kernarg_segment_align: 8
    .kernarg_segment_size: 104
    .language:       OpenCL C
    .language_version:
      - 2
      - 0
    .max_flat_workgroup_size: 150
    .name:           fft_rtc_back_len1500_factors_5_10_10_3_wgs_150_tpt_150_halfLds_dp_op_CI_CI_unitstride_sbrr_R2C_dirReg
    .private_segment_fixed_size: 0
    .sgpr_count:     29
    .sgpr_spill_count: 0
    .symbol:         fft_rtc_back_len1500_factors_5_10_10_3_wgs_150_tpt_150_halfLds_dp_op_CI_CI_unitstride_sbrr_R2C_dirReg.kd
    .uniform_work_group_size: 1
    .uses_dynamic_stack: false
    .vgpr_count:     99
    .vgpr_spill_count: 0
    .wavefront_size: 32
    .workgroup_processor_mode: 1
amdhsa.target:   amdgcn-amd-amdhsa--gfx1030
amdhsa.version:
  - 1
  - 2
...

	.end_amdgpu_metadata
